;; amdgpu-corpus repo=ROCm/rocFFT kind=compiled arch=gfx1100 opt=O3
	.text
	.amdgcn_target "amdgcn-amd-amdhsa--gfx1100"
	.amdhsa_code_object_version 6
	.protected	bluestein_single_fwd_len2500_dim1_dp_op_CI_CI ; -- Begin function bluestein_single_fwd_len2500_dim1_dp_op_CI_CI
	.globl	bluestein_single_fwd_len2500_dim1_dp_op_CI_CI
	.p2align	8
	.type	bluestein_single_fwd_len2500_dim1_dp_op_CI_CI,@function
bluestein_single_fwd_len2500_dim1_dp_op_CI_CI: ; @bluestein_single_fwd_len2500_dim1_dp_op_CI_CI
; %bb.0:
	s_load_b128 s[16:19], s[0:1], 0x28
	v_mul_u32_u24_e32 v1, 0x107, v0
	s_mov_b32 s2, exec_lo
	v_mov_b32_e32 v141, 0
	s_delay_alu instid0(VALU_DEP_2) | instskip(NEXT) | instid1(VALU_DEP_1)
	v_lshrrev_b32_e32 v1, 16, v1
	v_add_nc_u32_e32 v140, s15, v1
	s_waitcnt lgkmcnt(0)
	s_delay_alu instid0(VALU_DEP_1)
	v_cmpx_gt_u64_e64 s[16:17], v[140:141]
	s_cbranch_execz .LBB0_2
; %bb.1:
	s_clause 0x1
	s_load_b128 s[12:15], s[0:1], 0x18
	s_load_b128 s[8:11], s[0:1], 0x0
	v_mul_lo_u16 v1, 0xfa, v1
	s_mov_b32 s17, 0xbfee6f0e
	s_mov_b32 s25, 0xbfe9e377
	s_load_b64 s[0:1], s[0:1], 0x38
	s_delay_alu instid0(VALU_DEP_1)
	v_sub_nc_u16 v72, v0, v1
	s_waitcnt lgkmcnt(0)
	s_load_b128 s[20:23], s[12:13], 0x0
	s_mov_b32 s13, 0xbfe2cf23
	s_waitcnt lgkmcnt(0)
	v_mad_u64_u32 v[26:27], null, s22, v140, 0
	s_delay_alu instid0(VALU_DEP_1) | instskip(NEXT) | instid1(VALU_DEP_1)
	v_dual_mov_b32 v12, v27 :: v_dual_and_b32 v141, 0xffff, v72
	v_mad_u64_u32 v[30:31], null, s20, v141, 0
	v_lshlrev_b32_e32 v142, 4, v141
	v_lshlrev_b32_e32 v139, 6, v141
	s_delay_alu instid0(VALU_DEP_3) | instskip(NEXT) | instid1(VALU_DEP_3)
	v_mov_b32_e32 v13, v31
	v_add_co_u32 v143, s2, s8, v142
	s_delay_alu instid0(VALU_DEP_1) | instskip(NEXT) | instid1(VALU_DEP_3)
	v_add_co_ci_u32_e64 v144, null, s9, 0, s2
	v_mad_u64_u32 v[16:17], null, s23, v140, v[12:13]
	v_mad_u64_u32 v[34:35], null, s21, v141, v[13:14]
	s_clause 0x1
	global_load_b128 v[0:3], v142, s[8:9]
	global_load_b128 v[4:7], v142, s[8:9] offset:4000
	v_add_co_u32 v8, vcc_lo, 0x1000, v143
	v_add_co_u32 v10, s2, 0x2000, v143
	v_mov_b32_e32 v27, v16
	v_mov_b32_e32 v31, v34
	v_add_co_u32 v20, s3, 0x3000, v143
	v_add_co_u32 v22, s4, 0x4000, v143
	s_delay_alu instid0(VALU_DEP_4)
	v_lshlrev_b64 v[34:35], 4, v[26:27]
	v_add_co_u32 v24, s5, 0x5000, v143
	v_add_co_u32 v28, s6, 0x6000, v143
	v_add_co_u32 v32, s7, 0x7000, v143
	v_add_co_u32 v36, s8, 0x8000, v143
	v_add_co_ci_u32_e32 v9, vcc_lo, 0, v144, vcc_lo
	v_add_co_ci_u32_e64 v11, vcc_lo, 0, v144, s2
	v_add_co_ci_u32_e64 v21, vcc_lo, 0, v144, s3
	;; [unrolled: 1-line block ×7, first 2 shown]
	v_lshlrev_b64 v[30:31], 4, v[30:31]
	v_add_co_u32 v34, vcc_lo, s18, v34
	v_add_co_ci_u32_e32 v35, vcc_lo, s19, v35, vcc_lo
	s_mul_i32 s2, s21, 0xfa0
	s_delay_alu instid0(VALU_DEP_2) | instskip(NEXT) | instid1(VALU_DEP_2)
	v_add_co_u32 v34, vcc_lo, v34, v30
	v_add_co_ci_u32_e32 v35, vcc_lo, v35, v31, vcc_lo
	s_mul_hi_u32 s3, s20, 0xfa0
	s_mul_i32 s4, s20, 0xfa0
	s_add_i32 s3, s3, s2
	v_add_co_u32 v38, vcc_lo, v34, s4
	v_add_co_ci_u32_e32 v39, vcc_lo, s3, v35, vcc_lo
	global_load_b128 v[12:15], v[8:9], off offset:3904
	v_add_co_u32 v48, vcc_lo, v38, s4
	v_add_co_ci_u32_e32 v49, vcc_lo, s3, v39, vcc_lo
	s_clause 0x2
	global_load_b128 v[16:19], v[10:11], off offset:3808
	global_load_b128 v[8:11], v[20:21], off offset:3712
	;; [unrolled: 1-line block ×3, first 2 shown]
	s_clause 0x1
	global_load_b128 v[40:43], v[34:35], off
	global_load_b128 v[44:47], v[38:39], off
	v_add_co_u32 v34, vcc_lo, v48, s4
	v_add_co_ci_u32_e32 v35, vcc_lo, s3, v49, vcc_lo
	global_load_b128 v[48:51], v[48:49], off
	v_add_co_u32 v38, vcc_lo, v34, s4
	v_add_co_ci_u32_e32 v39, vcc_lo, s3, v35, vcc_lo
	global_load_b128 v[52:55], v[34:35], off
	v_add_co_u32 v60, vcc_lo, v38, s4
	global_load_b128 v[56:59], v[38:39], off
	v_add_co_ci_u32_e32 v61, vcc_lo, s3, v39, vcc_lo
	v_add_co_u32 v34, vcc_lo, v60, s4
	s_clause 0x1
	global_load_b128 v[24:27], v[24:25], off offset:3520
	global_load_b128 v[28:31], v[28:29], off offset:3424
	v_add_co_ci_u32_e32 v35, vcc_lo, s3, v61, vcc_lo
	v_add_co_u32 v38, vcc_lo, v34, s4
	global_load_b128 v[60:63], v[60:61], off
	v_add_co_ci_u32_e32 v39, vcc_lo, s3, v35, vcc_lo
	v_add_co_u32 v73, vcc_lo, v38, s4
	global_load_b128 v[64:67], v[34:35], off
	v_add_co_ci_u32_e32 v74, vcc_lo, s3, v39, vcc_lo
	v_add_co_u32 v77, vcc_lo, v73, s4
	s_mov_b32 s8, 0x4755a5e
	s_delay_alu instid0(VALU_DEP_2)
	v_add_co_ci_u32_e32 v78, vcc_lo, s3, v74, vcc_lo
	global_load_b128 v[68:71], v[38:39], off
	global_load_b128 v[32:35], v[32:33], off offset:3328
	global_load_b128 v[73:76], v[73:74], off
	global_load_b128 v[36:39], v[36:37], off offset:3232
	global_load_b128 v[77:80], v[77:78], off
	s_load_b128 s[4:7], s[14:15], 0x0
	s_mov_b32 s14, 0x134454ff
	s_mov_b32 s15, 0x3fee6f0e
	s_mov_b32 s16, s14
	s_mov_b32 s9, 0x3fe2cf23
	s_mov_b32 s12, s8
	s_mov_b32 s18, 0x372fe950
	s_mov_b32 s19, 0x3fd3c6ef
	s_mov_b32 s20, 0x9b97f4a8
	s_mov_b32 s21, 0x3fe9e377
	s_mov_b32 s23, 0xbfd3c6ef
	s_mov_b32 s22, s18
	s_mov_b32 s24, s20
	v_add_co_u32 v139, s2, s10, v139
	s_waitcnt vmcnt(13)
	v_mul_f64 v[81:82], v[42:43], v[2:3]
	v_mul_f64 v[83:84], v[40:41], v[2:3]
	s_waitcnt vmcnt(12)
	v_mul_f64 v[85:86], v[46:47], v[6:7]
	v_mul_f64 v[87:88], v[44:45], v[6:7]
	;; [unrolled: 3-line block ×10, first 2 shown]
	v_fma_f64 v[40:41], v[40:41], v[0:1], v[81:82]
	v_fma_f64 v[42:43], v[42:43], v[0:1], -v[83:84]
	v_fma_f64 v[44:45], v[44:45], v[4:5], v[85:86]
	v_fma_f64 v[46:47], v[46:47], v[4:5], -v[87:88]
	v_fma_f64 v[48:49], v[48:49], v[12:13], v[89:90]
	v_fma_f64 v[50:51], v[50:51], v[12:13], -v[91:92]
	v_fma_f64 v[52:53], v[52:53], v[16:17], v[93:94]
	v_fma_f64 v[54:55], v[54:55], v[16:17], -v[95:96]
	v_fma_f64 v[56:57], v[56:57], v[8:9], v[97:98]
	v_fma_f64 v[58:59], v[58:59], v[8:9], -v[99:100]
	v_fma_f64 v[60:61], v[60:61], v[20:21], v[101:102]
	v_fma_f64 v[62:63], v[62:63], v[20:21], -v[103:104]
	v_fma_f64 v[64:65], v[64:65], v[24:25], v[105:106]
	v_fma_f64 v[66:67], v[66:67], v[24:25], -v[107:108]
	v_fma_f64 v[68:69], v[68:69], v[28:29], v[109:110]
	v_fma_f64 v[70:71], v[70:71], v[28:29], -v[111:112]
	v_fma_f64 v[73:74], v[73:74], v[32:33], v[113:114]
	v_fma_f64 v[75:76], v[75:76], v[32:33], -v[115:116]
	v_fma_f64 v[77:78], v[77:78], v[36:37], v[117:118]
	v_fma_f64 v[79:80], v[79:80], v[36:37], -v[119:120]
	ds_store_b128 v142, v[40:43]
	ds_store_b128 v142, v[44:47] offset:4000
	ds_store_b128 v142, v[48:51] offset:8000
	;; [unrolled: 1-line block ×9, first 2 shown]
	s_waitcnt lgkmcnt(0)
	s_barrier
	buffer_gl0_inv
	ds_load_b128 v[40:43], v142 offset:20000
	ds_load_b128 v[44:47], v142 offset:28000
	;; [unrolled: 1-line block ×5, first 2 shown]
	s_waitcnt lgkmcnt(3)
	v_add_f64 v[60:61], v[40:41], v[44:45]
	v_add_f64 v[73:74], v[42:43], v[46:47]
	s_waitcnt lgkmcnt(1)
	v_add_f64 v[62:63], v[54:55], v[50:51]
	v_add_f64 v[64:65], v[52:53], v[48:49]
	v_add_f64 v[81:82], v[54:55], -v[50:51]
	v_add_f64 v[83:84], v[42:43], -v[46:47]
	;; [unrolled: 1-line block ×12, first 2 shown]
	s_waitcnt lgkmcnt(0)
	v_add_f64 v[52:53], v[56:57], v[52:53]
	v_add_f64 v[54:55], v[58:59], v[54:55]
	v_fma_f64 v[87:88], v[60:61], -0.5, v[56:57]
	v_fma_f64 v[95:96], v[73:74], -0.5, v[58:59]
	;; [unrolled: 1-line block ×4, first 2 shown]
	ds_load_b128 v[60:63], v142 offset:16000
	ds_load_b128 v[64:67], v142 offset:24000
	;; [unrolled: 1-line block ×4, first 2 shown]
	ds_load_b128 v[77:80], v142
	s_waitcnt lgkmcnt(0)
	s_barrier
	buffer_gl0_inv
	v_add_f64 v[40:41], v[52:53], v[40:41]
	v_add_f64 v[42:43], v[54:55], v[42:43]
	;; [unrolled: 1-line block ×8, first 2 shown]
	v_add_f64 v[131:132], v[75:76], -v[70:71]
	v_add_f64 v[133:134], v[62:63], -v[66:67]
	;; [unrolled: 1-line block ×4, first 2 shown]
	v_fma_f64 v[119:120], v[81:82], s[14:15], v[87:88]
	v_fma_f64 v[87:88], v[81:82], s[16:17], v[87:88]
	;; [unrolled: 1-line block ×8, first 2 shown]
	v_add_f64 v[40:41], v[40:41], v[44:45]
	v_add_f64 v[42:43], v[42:43], v[46:47]
	v_fma_f64 v[56:57], v[97:98], -0.5, v[77:78]
	v_fma_f64 v[97:98], v[101:102], -0.5, v[79:80]
	;; [unrolled: 1-line block ×4, first 2 shown]
	v_add_f64 v[99:100], v[105:106], v[107:108]
	v_add_f64 v[101:102], v[109:110], v[111:112]
	;; [unrolled: 1-line block ×3, first 2 shown]
	v_add_f64 v[115:116], v[75:76], -v[62:63]
	v_add_f64 v[75:76], v[62:63], -v[75:76]
	v_add_f64 v[62:63], v[135:136], v[62:63]
	v_add_f64 v[111:112], v[68:69], -v[64:65]
	v_add_f64 v[113:114], v[64:65], -v[68:69]
	v_fma_f64 v[105:106], v[83:84], s[8:9], v[119:120]
	v_fma_f64 v[83:84], v[83:84], s[12:13], v[87:88]
	;; [unrolled: 1-line block ×6, first 2 shown]
	v_add_f64 v[87:88], v[117:118], v[125:126]
	v_fma_f64 v[91:92], v[85:86], s[8:9], v[127:128]
	v_add_f64 v[93:94], v[73:74], -v[60:61]
	v_add_f64 v[73:74], v[60:61], -v[73:74]
	v_add_f64 v[60:61], v[129:130], v[60:61]
	v_add_f64 v[117:118], v[70:71], -v[66:67]
	v_add_f64 v[119:120], v[66:67], -v[70:71]
	v_fma_f64 v[85:86], v[85:86], s[12:13], v[95:96]
	v_add_f64 v[48:49], v[40:41], v[48:49]
	v_add_f64 v[50:51], v[42:43], v[50:51]
	v_fma_f64 v[52:53], v[131:132], s[14:15], v[56:57]
	v_fma_f64 v[54:55], v[131:132], s[16:17], v[56:57]
	v_fma_f64 v[56:57], v[133:134], s[16:17], v[77:78]
	v_fma_f64 v[77:78], v[133:134], s[14:15], v[77:78]
	v_fma_f64 v[121:122], v[137:138], s[16:17], v[97:98]
	v_fma_f64 v[123:124], v[58:59], s[14:15], v[79:80]
	v_fma_f64 v[79:80], v[58:59], s[16:17], v[79:80]
	v_fma_f64 v[97:98], v[137:138], s[14:15], v[97:98]
	v_add_f64 v[62:63], v[62:63], v[66:67]
	v_fma_f64 v[95:96], v[99:100], s[18:19], v[105:106]
	v_fma_f64 v[83:84], v[99:100], s[18:19], v[83:84]
	;; [unrolled: 1-line block ×7, first 2 shown]
	v_add_f64 v[93:94], v[93:94], v[111:112]
	v_add_f64 v[73:74], v[73:74], v[113:114]
	;; [unrolled: 1-line block ×5, first 2 shown]
	v_fma_f64 v[44:45], v[133:134], s[8:9], v[52:53]
	v_fma_f64 v[46:47], v[133:134], s[12:13], v[54:55]
	;; [unrolled: 1-line block ×9, first 2 shown]
	v_add_f64 v[62:63], v[62:63], v[70:71]
	v_mul_f64 v[79:80], v[95:96], s[20:21]
	v_mul_f64 v[95:96], v[95:96], s[12:13]
	;; [unrolled: 1-line block ×8, first 2 shown]
	v_add_f64 v[60:61], v[60:61], v[68:69]
	v_fma_f64 v[68:69], v[93:94], s[18:19], v[44:45]
	v_fma_f64 v[70:71], v[93:94], s[18:19], v[46:47]
	;; [unrolled: 1-line block ×7, first 2 shown]
	v_and_b32_e32 v73, 0xff, v72
	v_fma_f64 v[99:100], v[99:100], s[18:19], v[58:59]
	v_add_f64 v[42:43], v[62:63], v[50:51]
	v_add_f64 v[46:47], v[62:63], -v[50:51]
	v_fma_f64 v[64:65], v[77:78], s[8:9], v[79:80]
	v_fma_f64 v[76:77], v[77:78], s[20:21], v[95:96]
	;; [unrolled: 1-line block ×8, first 2 shown]
	v_add_co_u32 v108, null, 0xfa, v141
	v_add_f64 v[44:45], v[60:61], -v[48:49]
	v_mul_lo_u16 v91, 0xcd, v73
	v_mul_lo_u16 v73, v73, 41
	s_delay_alu instid0(VALU_DEP_4) | instskip(NEXT) | instid1(VALU_DEP_1)
	v_and_b32_e32 v40, 0xffff, v108
	v_mul_u32_u24_e32 v92, 0xcccd, v40
	v_add_f64 v[40:41], v[60:61], v[48:49]
	v_add_f64 v[48:49], v[68:69], v[64:65]
	;; [unrolled: 1-line block ×9, first 2 shown]
	v_add_f64 v[64:65], v[68:69], -v[64:65]
	v_add_f64 v[68:69], v[93:94], -v[66:67]
	;; [unrolled: 1-line block ×8, first 2 shown]
	v_lshrrev_b16 v75, 11, v91
	v_lshrrev_b32_e32 v74, 19, v92
	v_mul_lo_u16 v86, v72, 10
	s_delay_alu instid0(VALU_DEP_3) | instskip(NEXT) | instid1(VALU_DEP_3)
	v_mul_lo_u16 v76, v75, 10
	v_mul_lo_u16 v77, v74, 10
	s_delay_alu instid0(VALU_DEP_3) | instskip(SKIP_1) | instid1(VALU_DEP_4)
	v_and_b32_e32 v86, 0xffff, v86
	v_and_b32_e32 v75, 0xffff, v75
	v_sub_nc_u16 v76, v72, v76
	s_delay_alu instid0(VALU_DEP_4) | instskip(NEXT) | instid1(VALU_DEP_4)
	v_sub_nc_u16 v77, v108, v77
	v_lshlrev_b32_e32 v145, 4, v86
	ds_store_b128 v145, v[40:43]
	ds_store_b128 v145, v[44:47] offset:80
	ds_store_b128 v145, v[48:51] offset:16
	;; [unrolled: 1-line block ×9, first 2 shown]
	v_and_b32_e32 v76, 0xff, v76
	v_lshlrev_b16 v87, 2, v77
	s_waitcnt lgkmcnt(0)
	s_barrier
	buffer_gl0_inv
	v_lshlrev_b32_e32 v86, 6, v76
	v_and_b32_e32 v87, 0xffff, v87
	s_clause 0x2
	global_load_b128 v[52:55], v86, s[10:11]
	global_load_b128 v[44:47], v86, s[10:11] offset:16
	global_load_b128 v[40:43], v86, s[10:11] offset:32
	v_lshlrev_b32_e32 v56, 4, v87
	s_clause 0x4
	global_load_b128 v[48:51], v86, s[10:11] offset:48
	global_load_b128 v[68:71], v56, s[10:11]
	global_load_b128 v[64:67], v56, s[10:11] offset:16
	global_load_b128 v[60:63], v56, s[10:11] offset:32
	global_load_b128 v[56:59], v56, s[10:11] offset:48
	ds_load_b128 v[78:81], v142 offset:8000
	ds_load_b128 v[82:85], v142 offset:16000
	ds_load_b128 v[86:89], v142 offset:24000
	ds_load_b128 v[90:93], v142 offset:32000
	ds_load_b128 v[94:97], v142 offset:12000
	ds_load_b128 v[98:101], v142 offset:20000
	ds_load_b128 v[102:105], v142 offset:28000
	ds_load_b128 v[109:112], v142 offset:36000
	v_lshlrev_b32_e32 v108, 6, v108
	s_delay_alu instid0(VALU_DEP_1)
	v_add_co_u32 v108, s3, s10, v108
	s_waitcnt vmcnt(7) lgkmcnt(7)
	v_mul_f64 v[117:118], v[78:79], v[54:55]
	s_waitcnt vmcnt(6) lgkmcnt(6)
	v_mul_f64 v[113:114], v[84:85], v[46:47]
	;; [unrolled: 2-line block ×3, first 2 shown]
	v_mul_f64 v[121:122], v[82:83], v[46:47]
	v_mul_f64 v[123:124], v[86:87], v[42:43]
	;; [unrolled: 1-line block ×3, first 2 shown]
	s_waitcnt vmcnt(4) lgkmcnt(4)
	v_mul_f64 v[119:120], v[92:93], v[50:51]
	v_mul_f64 v[125:126], v[90:91], v[50:51]
	s_waitcnt vmcnt(2) lgkmcnt(2)
	v_mul_f64 v[129:130], v[100:101], v[66:67]
	s_waitcnt vmcnt(1) lgkmcnt(1)
	v_mul_f64 v[131:132], v[104:105], v[62:63]
	v_mul_f64 v[137:138], v[98:99], v[66:67]
	;; [unrolled: 1-line block ×5, first 2 shown]
	s_waitcnt vmcnt(0) lgkmcnt(0)
	v_mul_f64 v[135:136], v[111:112], v[58:59]
	v_mul_f64 v[148:149], v[109:110], v[58:59]
	v_fma_f64 v[113:114], v[82:83], v[44:45], -v[113:114]
	v_fma_f64 v[86:87], v[86:87], v[40:41], -v[115:116]
	v_fma_f64 v[115:116], v[80:81], v[52:53], v[117:118]
	v_fma_f64 v[117:118], v[84:85], v[44:45], v[121:122]
	;; [unrolled: 1-line block ×3, first 2 shown]
	v_fma_f64 v[106:107], v[78:79], v[52:53], -v[106:107]
	v_fma_f64 v[90:91], v[90:91], v[48:49], -v[119:120]
	v_fma_f64 v[92:93], v[92:93], v[48:49], v[125:126]
	v_fma_f64 v[98:99], v[98:99], v[64:65], -v[129:130]
	v_fma_f64 v[102:103], v[102:103], v[60:61], -v[131:132]
	v_fma_f64 v[100:101], v[100:101], v[64:65], v[137:138]
	v_fma_f64 v[104:105], v[104:105], v[60:61], v[146:147]
	v_fma_f64 v[94:95], v[94:95], v[68:69], -v[127:128]
	v_fma_f64 v[96:97], v[96:97], v[68:69], v[133:134]
	v_fma_f64 v[109:110], v[109:110], v[56:57], -v[135:136]
	v_fma_f64 v[111:112], v[111:112], v[56:57], v[148:149]
	ds_load_b128 v[78:81], v142
	ds_load_b128 v[82:85], v142 offset:4000
	s_waitcnt lgkmcnt(0)
	s_barrier
	buffer_gl0_inv
	v_add_f64 v[119:120], v[113:114], v[86:87]
	v_add_f64 v[148:149], v[80:81], v[115:116]
	v_add_f64 v[164:165], v[115:116], -v[117:118]
	v_add_f64 v[123:124], v[117:118], v[88:89]
	v_add_f64 v[135:136], v[78:79], v[106:107]
	;; [unrolled: 1-line block ×4, first 2 shown]
	v_add_f64 v[137:138], v[115:116], -v[92:93]
	v_add_f64 v[127:128], v[98:99], v[102:103]
	v_add_f64 v[154:155], v[106:107], -v[90:91]
	v_add_f64 v[131:132], v[100:101], v[104:105]
	v_add_f64 v[150:151], v[82:83], v[94:95]
	v_add_f64 v[146:147], v[117:118], -v[88:89]
	v_add_f64 v[129:130], v[94:95], v[109:110]
	v_add_f64 v[133:134], v[96:97], v[111:112]
	;; [unrolled: 1-line block ×3, first 2 shown]
	v_add_f64 v[156:157], v[96:97], -v[111:112]
	v_add_f64 v[158:159], v[94:95], -v[109:110]
	v_add_f64 v[115:116], v[117:118], -v[115:116]
	v_add_f64 v[160:161], v[90:91], -v[86:87]
	v_add_f64 v[166:167], v[92:93], -v[88:89]
	v_add_f64 v[170:171], v[94:95], -v[98:99]
	v_add_f64 v[94:95], v[98:99], -v[94:95]
	v_add_f64 v[174:175], v[102:103], -v[109:110]
	v_add_f64 v[162:163], v[86:87], -v[90:91]
	v_add_f64 v[168:169], v[88:89], -v[92:93]
	v_add_f64 v[176:177], v[96:97], -v[100:101]
	v_add_f64 v[96:97], v[100:101], -v[96:97]
	v_add_f64 v[180:181], v[104:105], -v[111:112]
	v_add_f64 v[172:173], v[109:110], -v[102:103]
	v_add_f64 v[178:179], v[111:112], -v[104:105]
	v_fma_f64 v[119:120], v[119:120], -0.5, v[78:79]
	v_add_f64 v[117:118], v[148:149], v[117:118]
	v_fma_f64 v[123:124], v[123:124], -0.5, v[80:81]
	v_fma_f64 v[78:79], v[121:122], -0.5, v[78:79]
	v_add_f64 v[121:122], v[113:114], -v[86:87]
	v_fma_f64 v[80:81], v[125:126], -0.5, v[80:81]
	v_fma_f64 v[127:128], v[127:128], -0.5, v[82:83]
	v_add_f64 v[125:126], v[100:101], -v[104:105]
	v_fma_f64 v[131:132], v[131:132], -0.5, v[84:85]
	v_fma_f64 v[82:83], v[129:130], -0.5, v[82:83]
	v_add_f64 v[129:130], v[98:99], -v[102:103]
	v_fma_f64 v[84:85], v[133:134], -0.5, v[84:85]
	v_add_f64 v[133:134], v[106:107], -v[113:114]
	v_add_f64 v[106:107], v[113:114], -v[106:107]
	v_add_f64 v[113:114], v[135:136], v[113:114]
	v_add_f64 v[98:99], v[150:151], v[98:99]
	;; [unrolled: 1-line block ×5, first 2 shown]
	v_fma_f64 v[135:136], v[137:138], s[14:15], v[119:120]
	v_fma_f64 v[119:120], v[137:138], s[16:17], v[119:120]
	v_add_f64 v[88:89], v[117:118], v[88:89]
	v_fma_f64 v[150:151], v[154:155], s[16:17], v[123:124]
	v_fma_f64 v[123:124], v[154:155], s[14:15], v[123:124]
	;; [unrolled: 1-line block ×14, first 2 shown]
	v_add_f64 v[133:134], v[133:134], v[160:161]
	v_add_f64 v[86:87], v[113:114], v[86:87]
	;; [unrolled: 1-line block ×9, first 2 shown]
	v_fma_f64 v[98:99], v[146:147], s[8:9], v[135:136]
	v_fma_f64 v[100:101], v[146:147], s[12:13], v[119:120]
	;; [unrolled: 1-line block ×16, first 2 shown]
	v_add_f64 v[80:81], v[88:89], v[92:93]
	v_add_f64 v[78:79], v[86:87], v[90:91]
	;; [unrolled: 1-line block ×3, first 2 shown]
	v_lshrrev_b16 v110, 11, v73
	v_add_f64 v[84:85], v[96:97], v[111:112]
	s_delay_alu instid0(VALU_DEP_2) | instskip(SKIP_1) | instid1(VALU_DEP_2)
	v_mul_lo_u16 v73, v110, 50
	v_and_b32_e32 v110, 0xffff, v110
	v_sub_nc_u16 v72, v72, v73
	v_mad_u16 v73, v74, 50, v77
	v_mul_u32_u24_e32 v74, 50, v75
	s_delay_alu instid0(VALU_DEP_4) | instskip(NEXT) | instid1(VALU_DEP_4)
	v_mul_u32_u24_e32 v110, 0x1f4, v110
	v_and_b32_e32 v109, 0xff, v72
	v_fma_f64 v[86:87], v[133:134], s[18:19], v[98:99]
	v_fma_f64 v[90:91], v[133:134], s[18:19], v[100:101]
	v_and_b32_e32 v72, 0xffff, v73
	v_fma_f64 v[88:89], v[160:161], s[18:19], v[113:114]
	v_fma_f64 v[92:93], v[160:161], s[18:19], v[117:118]
	;; [unrolled: 1-line block ×14, first 2 shown]
	v_add_lshl_u32 v147, v74, v76, 4
	v_mad_u64_u32 v[76:77], null, 0x90, v109, s[10:11]
	v_lshlrev_b32_e32 v146, 4, v72
	ds_store_b128 v147, v[78:81]
	ds_store_b128 v147, v[86:89] offset:160
	ds_store_b128 v147, v[94:97] offset:320
	;; [unrolled: 1-line block ×4, first 2 shown]
	ds_store_b128 v146, v[82:85]
	ds_store_b128 v146, v[102:105] offset:160
	ds_store_b128 v146, v[115:118] offset:320
	;; [unrolled: 1-line block ×4, first 2 shown]
	s_waitcnt lgkmcnt(0)
	s_barrier
	buffer_gl0_inv
	s_clause 0x8
	global_load_b128 v[92:95], v[76:77], off offset:672
	global_load_b128 v[100:103], v[76:77], off offset:704
	;; [unrolled: 1-line block ×9, first 2 shown]
	ds_load_b128 v[111:114], v142 offset:12000
	ds_load_b128 v[115:118], v142 offset:20000
	;; [unrolled: 1-line block ×6, first 2 shown]
	s_waitcnt vmcnt(8) lgkmcnt(5)
	v_mul_f64 v[137:138], v[111:112], v[94:95]
	s_waitcnt vmcnt(7) lgkmcnt(4)
	v_mul_f64 v[148:149], v[117:118], v[102:103]
	v_mul_f64 v[150:151], v[115:116], v[102:103]
	s_waitcnt vmcnt(6) lgkmcnt(3)
	v_mul_f64 v[152:153], v[119:120], v[98:99]
	s_waitcnt vmcnt(5) lgkmcnt(2)
	v_mul_f64 v[154:155], v[123:124], v[106:107]
	v_mul_f64 v[158:159], v[121:122], v[98:99]
	;; [unrolled: 1-line block ×4, first 2 shown]
	s_waitcnt vmcnt(4) lgkmcnt(1)
	v_mul_f64 v[160:161], v[129:130], v[74:75]
	v_mul_f64 v[162:163], v[127:128], v[74:75]
	v_fma_f64 v[137:138], v[113:114], v[92:93], v[137:138]
	v_fma_f64 v[148:149], v[115:116], v[100:101], -v[148:149]
	v_fma_f64 v[150:151], v[117:118], v[100:101], v[150:151]
	v_fma_f64 v[152:153], v[121:122], v[96:97], v[152:153]
	;; [unrolled: 1-line block ×3, first 2 shown]
	v_fma_f64 v[154:155], v[119:120], v[96:97], -v[158:159]
	v_fma_f64 v[135:136], v[111:112], v[92:93], -v[135:136]
	;; [unrolled: 1-line block ×3, first 2 shown]
	ds_load_b128 v[111:114], v142 offset:16000
	ds_load_b128 v[115:118], v142 offset:24000
	;; [unrolled: 1-line block ×3, first 2 shown]
	s_waitcnt vmcnt(3) lgkmcnt(3)
	v_mul_f64 v[156:157], v[133:134], v[90:91]
	v_mul_f64 v[158:159], v[131:132], v[90:91]
	v_fma_f64 v[127:128], v[127:128], v[72:73], -v[160:161]
	v_fma_f64 v[129:130], v[129:130], v[72:73], v[162:163]
	s_waitcnt vmcnt(2) lgkmcnt(2)
	v_mul_f64 v[164:165], v[113:114], v[86:87]
	v_mul_f64 v[166:167], v[111:112], v[86:87]
	s_waitcnt vmcnt(1) lgkmcnt(1)
	v_mul_f64 v[168:169], v[117:118], v[82:83]
	s_waitcnt vmcnt(0) lgkmcnt(0)
	v_mul_f64 v[170:171], v[121:122], v[78:79]
	v_mul_f64 v[172:173], v[115:116], v[82:83]
	;; [unrolled: 1-line block ×3, first 2 shown]
	v_add_f64 v[192:193], v[137:138], -v[150:151]
	v_add_f64 v[160:161], v[150:151], v[152:153]
	v_add_f64 v[162:163], v[137:138], v[125:126]
	;; [unrolled: 1-line block ×3, first 2 shown]
	v_add_f64 v[184:185], v[135:136], -v[148:149]
	v_add_f64 v[176:177], v[135:136], v[123:124]
	v_add_f64 v[186:187], v[123:124], -v[154:155]
	v_fma_f64 v[131:132], v[131:132], v[88:89], -v[156:157]
	v_fma_f64 v[133:134], v[133:134], v[88:89], v[158:159]
	v_add_f64 v[188:189], v[148:149], -v[135:136]
	v_add_f64 v[190:191], v[154:155], -v[123:124]
	;; [unrolled: 1-line block ×5, first 2 shown]
	v_fma_f64 v[156:157], v[111:112], v[84:85], -v[164:165]
	v_fma_f64 v[158:159], v[113:114], v[84:85], v[166:167]
	v_fma_f64 v[115:116], v[115:116], v[80:81], -v[168:169]
	v_fma_f64 v[119:120], v[119:120], v[76:77], -v[170:171]
	v_fma_f64 v[117:118], v[117:118], v[80:81], v[172:173]
	v_fma_f64 v[121:122], v[121:122], v[76:77], v[174:175]
	v_add_f64 v[164:165], v[137:138], -v[125:126]
	v_add_f64 v[168:169], v[135:136], -v[123:124]
	;; [unrolled: 1-line block ×4, first 2 shown]
	ds_load_b128 v[111:114], v142
	s_waitcnt lgkmcnt(0)
	s_barrier
	buffer_gl0_inv
	v_fma_f64 v[160:161], v[160:161], -0.5, v[129:130]
	v_fma_f64 v[162:163], v[162:163], -0.5, v[129:130]
	;; [unrolled: 1-line block ×3, first 2 shown]
	v_add_f64 v[129:130], v[129:130], v[137:138]
	v_fma_f64 v[172:173], v[176:177], -0.5, v[127:128]
	v_add_f64 v[127:128], v[127:128], v[135:136]
	v_add_f64 v[208:209], v[111:112], v[131:132]
	;; [unrolled: 1-line block ×7, first 2 shown]
	v_add_f64 v[210:211], v[133:134], -v[121:122]
	v_add_f64 v[216:217], v[131:132], -v[119:120]
	;; [unrolled: 1-line block ×4, first 2 shown]
	v_fma_f64 v[200:201], v[168:169], s[16:17], v[160:161]
	v_fma_f64 v[202:203], v[170:171], s[14:15], v[162:163]
	;; [unrolled: 1-line block ×8, first 2 shown]
	v_add_f64 v[127:128], v[127:128], v[148:149]
	v_add_f64 v[129:130], v[129:130], v[150:151]
	v_fma_f64 v[135:136], v[176:177], -0.5, v[111:112]
	v_fma_f64 v[111:112], v[178:179], -0.5, v[111:112]
	;; [unrolled: 1-line block ×4, first 2 shown]
	v_add_f64 v[176:177], v[184:185], v[186:187]
	v_add_f64 v[178:179], v[188:189], v[190:191]
	;; [unrolled: 1-line block ×4, first 2 shown]
	v_add_f64 v[192:193], v[121:122], -v[117:118]
	v_add_f64 v[194:195], v[117:118], -v[121:122]
	v_fma_f64 v[184:185], v[170:171], s[12:13], v[200:201]
	v_fma_f64 v[186:187], v[168:169], s[12:13], v[202:203]
	;; [unrolled: 1-line block ×8, first 2 shown]
	v_add_f64 v[168:169], v[131:132], -v[156:157]
	v_add_f64 v[131:132], v[156:157], -v[131:132]
	;; [unrolled: 1-line block ×4, first 2 shown]
	v_add_f64 v[156:157], v[208:209], v[156:157]
	v_add_f64 v[158:159], v[214:215], v[158:159]
	v_add_f64 v[170:171], v[119:120], -v[115:116]
	v_add_f64 v[172:173], v[115:116], -v[119:120]
	v_add_f64 v[127:128], v[127:128], v[154:155]
	v_add_f64 v[129:130], v[129:130], v[152:153]
	v_fma_f64 v[148:149], v[210:211], s[14:15], v[135:136]
	v_fma_f64 v[135:136], v[210:211], s[16:17], v[135:136]
	;; [unrolled: 1-line block ×16, first 2 shown]
	v_add_f64 v[133:134], v[133:134], v[194:195]
	v_add_f64 v[115:116], v[156:157], v[115:116]
	;; [unrolled: 1-line block ×6, first 2 shown]
	v_fma_f64 v[148:149], v[212:213], s[8:9], v[148:149]
	v_fma_f64 v[135:136], v[212:213], s[12:13], v[135:136]
	;; [unrolled: 1-line block ×8, first 2 shown]
	v_mul_f64 v[156:157], v[184:185], s[8:9]
	v_mul_f64 v[158:159], v[186:187], s[14:15]
	;; [unrolled: 1-line block ×8, first 2 shown]
	v_add_f64 v[115:116], v[115:116], v[119:120]
	v_add_f64 v[117:118], v[117:118], v[121:122]
	;; [unrolled: 1-line block ×4, first 2 shown]
	v_fma_f64 v[148:149], v[168:169], s[18:19], v[148:149]
	v_fma_f64 v[168:169], v[168:169], s[18:19], v[135:136]
	;; [unrolled: 1-line block ×16, first 2 shown]
	v_add_f64 v[111:112], v[115:116], v[119:120]
	v_add_f64 v[113:114], v[117:118], v[121:122]
	v_add_f64 v[115:116], v[115:116], -v[119:120]
	v_add_f64 v[117:118], v[117:118], -v[121:122]
	v_add_f64 v[119:120], v[148:149], v[135:136]
	v_add_f64 v[123:124], v[150:151], v[137:138]
	v_add_f64 v[131:132], v[168:169], v[155:156]
	v_add_f64 v[121:122], v[194:195], v[159:160]
	v_add_f64 v[127:128], v[192:193], v[152:153]
	v_add_f64 v[125:126], v[196:197], v[161:162]
	v_add_f64 v[129:130], v[198:199], v[163:164]
	v_add_f64 v[133:134], v[170:171], v[165:166]
	v_add_f64 v[135:136], v[148:149], -v[135:136]
	v_add_f64 v[149:150], v[150:151], -v[137:138]
	;; [unrolled: 1-line block ×8, first 2 shown]
	v_add_co_ci_u32_e64 v148, null, s11, 0, s2
	v_add_co_u32 v161, vcc_lo, 0x1ea0, v139
	v_add_co_u32 v163, s2, 0x1000, v139
	v_add_co_ci_u32_e64 v139, null, s11, 0, s3
	s_delay_alu instid0(VALU_DEP_4)
	v_add_co_ci_u32_e32 v162, vcc_lo, 0, v148, vcc_lo
	v_add_co_ci_u32_e64 v164, vcc_lo, 0, v148, s2
	v_add_lshl_u32 v148, v110, v109, 4
	v_add_co_u32 v165, vcc_lo, 0x1000, v108
	v_add_co_u32 v167, s2, 0x1ea0, v108
	v_add_co_ci_u32_e32 v166, vcc_lo, 0, v139, vcc_lo
	v_add_co_ci_u32_e64 v168, vcc_lo, 0, v139, s2
	ds_store_b128 v148, v[111:114]
	ds_store_b128 v148, v[115:118] offset:4000
	ds_store_b128 v148, v[119:122] offset:800
	;; [unrolled: 1-line block ×9, first 2 shown]
	s_waitcnt lgkmcnt(0)
	s_barrier
	buffer_gl0_inv
	s_clause 0x7
	global_load_b128 v[116:119], v[163:164], off offset:3744
	global_load_b128 v[120:123], v[161:162], off offset:16
	;; [unrolled: 1-line block ×8, first 2 shown]
	ds_load_b128 v[149:152], v142 offset:8000
	ds_load_b128 v[153:156], v142 offset:16000
	;; [unrolled: 1-line block ×8, first 2 shown]
	s_waitcnt vmcnt(3) lgkmcnt(3)
	v_mul_f64 v[197:198], v[167:168], v[126:127]
	v_mul_f64 v[181:182], v[151:152], v[118:119]
	;; [unrolled: 1-line block ×10, first 2 shown]
	s_waitcnt vmcnt(2) lgkmcnt(2)
	v_mul_f64 v[201:202], v[171:172], v[138:139]
	v_mul_f64 v[203:204], v[169:170], v[138:139]
	s_waitcnt vmcnt(1) lgkmcnt(1)
	v_mul_f64 v[205:206], v[175:176], v[134:135]
	s_waitcnt vmcnt(0) lgkmcnt(0)
	v_mul_f64 v[207:208], v[179:180], v[130:131]
	v_mul_f64 v[209:210], v[173:174], v[134:135]
	v_mul_f64 v[211:212], v[177:178], v[130:131]
	v_fma_f64 v[165:166], v[165:166], v[124:125], -v[197:198]
	v_fma_f64 v[181:182], v[149:150], v[116:117], -v[181:182]
	v_fma_f64 v[183:184], v[151:152], v[116:117], v[183:184]
	v_fma_f64 v[185:186], v[153:154], v[120:121], -v[185:186]
	v_fma_f64 v[187:188], v[155:156], v[120:121], v[187:188]
	v_fma_f64 v[157:158], v[157:158], v[112:113], -v[189:190]
	v_fma_f64 v[161:162], v[161:162], v[108:109], -v[191:192]
	v_fma_f64 v[159:160], v[159:160], v[112:113], v[193:194]
	v_fma_f64 v[163:164], v[163:164], v[108:109], v[195:196]
	;; [unrolled: 1-line block ×3, first 2 shown]
	v_fma_f64 v[169:170], v[169:170], v[136:137], -v[201:202]
	v_fma_f64 v[171:172], v[171:172], v[136:137], v[203:204]
	v_fma_f64 v[173:174], v[173:174], v[132:133], -v[205:206]
	v_fma_f64 v[177:178], v[177:178], v[128:129], -v[207:208]
	v_fma_f64 v[175:176], v[175:176], v[132:133], v[209:210]
	v_fma_f64 v[179:180], v[179:180], v[128:129], v[211:212]
	ds_load_b128 v[149:152], v142
	ds_load_b128 v[153:156], v142 offset:4000
	s_waitcnt lgkmcnt(1)
	v_add_f64 v[209:210], v[149:150], v[181:182]
	v_add_f64 v[205:206], v[181:182], -v[185:186]
	v_add_f64 v[211:212], v[185:186], -v[181:182]
	v_add_f64 v[189:190], v[185:186], v[157:158]
	v_add_f64 v[191:192], v[181:182], v[161:162]
	;; [unrolled: 1-line block ×4, first 2 shown]
	v_add_f64 v[207:208], v[161:162], -v[157:158]
	v_add_f64 v[213:214], v[157:158], -v[161:162]
	v_add_f64 v[215:216], v[183:184], -v[187:188]
	v_add_f64 v[197:198], v[169:170], v[173:174]
	v_add_f64 v[199:200], v[165:166], v[177:178]
	;; [unrolled: 1-line block ×4, first 2 shown]
	v_add_f64 v[217:218], v[163:164], -v[159:160]
	v_add_f64 v[219:220], v[187:188], -v[183:184]
	;; [unrolled: 1-line block ×6, first 2 shown]
	v_add_f64 v[209:210], v[209:210], v[185:186]
	v_add_f64 v[185:186], v[185:186], -v[157:158]
	v_fma_f64 v[189:190], v[189:190], -0.5, v[149:150]
	v_fma_f64 v[149:150], v[191:192], -0.5, v[149:150]
	;; [unrolled: 1-line block ×4, first 2 shown]
	v_add_f64 v[151:152], v[151:152], v[183:184]
	s_waitcnt lgkmcnt(0)
	v_add_f64 v[195:196], v[153:154], v[165:166]
	v_add_f64 v[205:206], v[205:206], v[207:208]
	v_fma_f64 v[197:198], v[197:198], -0.5, v[153:154]
	v_fma_f64 v[153:154], v[199:200], -0.5, v[153:154]
	;; [unrolled: 1-line block ×4, first 2 shown]
	v_add_f64 v[155:156], v[155:156], v[167:168]
	v_add_f64 v[203:204], v[169:170], -v[165:166]
	v_add_f64 v[207:208], v[173:174], -v[177:178]
	;; [unrolled: 1-line block ×3, first 2 shown]
	v_add_f64 v[211:212], v[211:212], v[213:214]
	v_add_f64 v[213:214], v[167:168], -v[171:172]
	v_add_f64 v[215:216], v[215:216], v[217:218]
	v_add_f64 v[217:218], v[179:180], -v[175:176]
	;; [unrolled: 2-line block ×4, first 2 shown]
	v_add_f64 v[167:168], v[167:168], -v[179:180]
	v_add_f64 v[165:166], v[165:166], -v[177:178]
	v_add_f64 v[157:158], v[209:210], v[157:158]
	v_add_f64 v[151:152], v[151:152], v[187:188]
	v_add_f64 v[187:188], v[187:188], -v[159:160]
	v_add_f64 v[195:196], v[195:196], v[169:170]
	v_add_f64 v[169:170], v[169:170], -v[173:174]
	;; [unrolled: 2-line block ×3, first 2 shown]
	v_add_f64 v[203:204], v[203:204], v[207:208]
	v_fma_f64 v[207:208], v[183:184], s[14:15], v[189:190]
	v_fma_f64 v[189:190], v[183:184], s[16:17], v[189:190]
	v_add_f64 v[213:214], v[213:214], v[217:218]
	v_add_f64 v[217:218], v[221:222], v[225:226]
	v_fma_f64 v[221:222], v[181:182], s[16:17], v[191:192]
	v_fma_f64 v[191:192], v[181:182], s[14:15], v[191:192]
	;; [unrolled: 1-line block ×4, first 2 shown]
	v_add_f64 v[151:152], v[151:152], v[159:160]
	v_fma_f64 v[209:210], v[187:188], s[16:17], v[149:150]
	v_fma_f64 v[159:160], v[167:168], s[14:15], v[197:198]
	v_add_f64 v[173:174], v[195:196], v[173:174]
	v_fma_f64 v[195:196], v[165:166], s[16:17], v[199:200]
	v_fma_f64 v[149:150], v[187:188], s[14:15], v[149:150]
	;; [unrolled: 1-line block ×3, first 2 shown]
	v_add_f64 v[155:156], v[155:156], v[175:176]
	v_fma_f64 v[175:176], v[171:172], s[16:17], v[153:154]
	v_fma_f64 v[153:154], v[171:172], s[14:15], v[153:154]
	;; [unrolled: 1-line block ×11, first 2 shown]
	v_add_f64 v[151:152], v[151:152], v[163:164]
	v_fma_f64 v[209:210], v[183:184], s[8:9], v[209:210]
	v_fma_f64 v[193:194], v[171:172], s[8:9], v[159:160]
	;; [unrolled: 1-line block ×5, first 2 shown]
	v_add_f64 v[155:156], v[155:156], v[179:180]
	v_fma_f64 v[225:226], v[167:168], s[8:9], v[175:176]
	v_fma_f64 v[227:228], v[167:168], s[12:13], v[153:154]
	v_add_f64 v[153:154], v[173:174], v[177:178]
	v_add_f64 v[149:150], v[157:158], v[161:162]
	v_fma_f64 v[189:190], v[165:166], s[12:13], v[189:190]
	v_fma_f64 v[201:202], v[165:166], s[8:9], v[201:202]
	;; [unrolled: 1-line block ×19, first 2 shown]
	v_add_co_u32 v189, vcc_lo, 0x9000, v143
	v_add_co_ci_u32_e32 v190, vcc_lo, 0, v144, vcc_lo
	ds_store_b128 v142, v[153:156] offset:4000
	ds_store_b128 v142, v[149:152]
	ds_store_b128 v142, v[157:160] offset:8000
	ds_store_b128 v142, v[165:168] offset:16000
	;; [unrolled: 1-line block ×8, first 2 shown]
	s_waitcnt lgkmcnt(0)
	s_barrier
	buffer_gl0_inv
	global_load_b128 v[149:152], v[189:190], off offset:3136
	v_add_co_u32 v153, vcc_lo, 0x9c40, v143
	v_add_co_ci_u32_e32 v154, vcc_lo, 0, v144, vcc_lo
	v_add_co_u32 v157, vcc_lo, 0xb000, v143
	v_add_co_ci_u32_e32 v158, vcc_lo, 0, v144, vcc_lo
	global_load_b128 v[153:156], v[153:154], off offset:4000
	v_add_co_u32 v161, vcc_lo, 0xc000, v143
	v_add_co_ci_u32_e32 v162, vcc_lo, 0, v144, vcc_lo
	s_clause 0x1
	global_load_b128 v[157:160], v[157:158], off offset:2944
	global_load_b128 v[161:164], v[161:162], off offset:2848
	v_add_co_u32 v165, vcc_lo, 0xd000, v143
	v_add_co_ci_u32_e32 v166, vcc_lo, 0, v144, vcc_lo
	v_add_co_u32 v169, vcc_lo, 0xe000, v143
	v_add_co_ci_u32_e32 v170, vcc_lo, 0, v144, vcc_lo
	v_add_co_u32 v173, vcc_lo, 0xf000, v143
	v_add_co_u32 v177, s2, 0x10000, v143
	v_add_co_u32 v181, s3, 0x11000, v143
	v_add_co_ci_u32_e32 v174, vcc_lo, 0, v144, vcc_lo
	v_add_co_ci_u32_e64 v178, vcc_lo, 0, v144, s2
	v_add_co_u32 v143, vcc_lo, 0x12000, v143
	v_add_co_ci_u32_e64 v182, s2, 0, v144, s3
	s_clause 0x1
	global_load_b128 v[165:168], v[165:166], off offset:2752
	global_load_b128 v[169:172], v[169:170], off offset:2656
	v_add_co_ci_u32_e32 v144, vcc_lo, 0, v144, vcc_lo
	s_clause 0x3
	global_load_b128 v[173:176], v[173:174], off offset:2560
	global_load_b128 v[177:180], v[177:178], off offset:2464
	;; [unrolled: 1-line block ×4, first 2 shown]
	ds_load_b128 v[189:192], v142
	ds_load_b128 v[193:196], v142 offset:4000
	ds_load_b128 v[197:200], v142 offset:8000
	;; [unrolled: 1-line block ×5, first 2 shown]
	s_mul_i32 s2, s5, 0xfa0
	s_mul_hi_u32 s3, s4, 0xfa0
	s_delay_alu instid0(SALU_CYCLE_1)
	s_add_i32 s3, s3, s2
	s_waitcnt vmcnt(9) lgkmcnt(5)
	v_mul_f64 v[143:144], v[191:192], v[151:152]
	v_mul_f64 v[151:152], v[189:190], v[151:152]
	s_waitcnt vmcnt(8) lgkmcnt(4)
	v_mul_f64 v[213:214], v[195:196], v[155:156]
	v_mul_f64 v[155:156], v[193:194], v[155:156]
	;; [unrolled: 3-line block ×3, first 2 shown]
	s_waitcnt vmcnt(6) lgkmcnt(2)
	v_mul_f64 v[217:218], v[203:204], v[163:164]
	v_fma_f64 v[189:190], v[189:190], v[149:150], -v[143:144]
	v_mul_f64 v[143:144], v[201:202], v[163:164]
	v_fma_f64 v[191:192], v[191:192], v[149:150], v[151:152]
	s_waitcnt vmcnt(5) lgkmcnt(1)
	v_mul_f64 v[219:220], v[207:208], v[167:168]
	v_mul_f64 v[167:168], v[205:206], v[167:168]
	s_waitcnt vmcnt(4) lgkmcnt(0)
	v_mul_f64 v[221:222], v[211:212], v[171:172]
	v_mul_f64 v[171:172], v[209:210], v[171:172]
	v_fma_f64 v[149:150], v[193:194], v[153:154], -v[213:214]
	v_fma_f64 v[151:152], v[195:196], v[153:154], v[155:156]
	ds_load_b128 v[153:156], v142 offset:24000
	v_fma_f64 v[193:194], v[197:198], v[157:158], -v[215:216]
	v_fma_f64 v[195:196], v[199:200], v[157:158], v[159:160]
	ds_load_b128 v[157:160], v142 offset:28000
	ds_load_b128 v[197:200], v142 offset:32000
	v_fma_f64 v[201:202], v[201:202], v[161:162], -v[217:218]
	s_waitcnt vmcnt(2) lgkmcnt(1)
	v_mul_f64 v[213:214], v[159:160], v[179:180]
	v_mul_f64 v[179:180], v[157:158], v[179:180]
	s_waitcnt vmcnt(1) lgkmcnt(0)
	v_mul_f64 v[215:216], v[199:200], v[183:184]
	v_fma_f64 v[203:204], v[203:204], v[161:162], v[143:144]
	ds_load_b128 v[161:164], v142 offset:36000
	v_mul_f64 v[143:144], v[155:156], v[175:176]
	v_mul_f64 v[175:176], v[153:154], v[175:176]
	;; [unrolled: 1-line block ×3, first 2 shown]
	v_fma_f64 v[205:206], v[205:206], v[165:166], -v[219:220]
	v_fma_f64 v[207:208], v[207:208], v[165:166], v[167:168]
	v_fma_f64 v[165:166], v[209:210], v[169:170], -v[221:222]
	v_fma_f64 v[167:168], v[211:212], v[169:170], v[171:172]
	s_waitcnt vmcnt(0) lgkmcnt(0)
	v_mul_f64 v[217:218], v[163:164], v[187:188]
	v_mul_f64 v[187:188], v[161:162], v[187:188]
	v_fma_f64 v[157:158], v[157:158], v[177:178], -v[213:214]
	v_fma_f64 v[159:160], v[159:160], v[177:178], v[179:180]
	v_fma_f64 v[169:170], v[197:198], v[181:182], -v[215:216]
	v_fma_f64 v[153:154], v[153:154], v[173:174], -v[143:144]
	v_fma_f64 v[155:156], v[155:156], v[173:174], v[175:176]
	v_fma_f64 v[171:172], v[199:200], v[181:182], v[183:184]
	v_fma_f64 v[161:162], v[161:162], v[185:186], -v[217:218]
	v_fma_f64 v[163:164], v[163:164], v[185:186], v[187:188]
	ds_store_b128 v142, v[149:152] offset:4000
	ds_store_b128 v142, v[193:196] offset:8000
	;; [unrolled: 1-line block ×8, first 2 shown]
	ds_store_b128 v142, v[189:192]
	ds_store_b128 v142, v[161:164] offset:36000
	s_waitcnt lgkmcnt(0)
	s_barrier
	buffer_gl0_inv
	ds_load_b128 v[149:152], v142 offset:36000
	ds_load_b128 v[153:156], v142 offset:12000
	;; [unrolled: 1-line block ×9, first 2 shown]
	ds_load_b128 v[185:188], v142
	s_waitcnt lgkmcnt(0)
	s_barrier
	buffer_gl0_inv
	v_add_f64 v[143:144], v[155:156], v[151:152]
	v_add_f64 v[193:194], v[153:154], v[149:150]
	;; [unrolled: 1-line block ×4, first 2 shown]
	v_add_f64 v[211:212], v[157:158], -v[161:162]
	v_add_f64 v[203:204], v[181:182], v[153:154]
	v_add_f64 v[205:206], v[183:184], v[155:156]
	v_add_f64 v[209:210], v[187:188], v[179:180]
	v_add_f64 v[213:214], v[153:154], -v[157:158]
	v_add_f64 v[215:216], v[149:150], -v[161:162]
	;; [unrolled: 1-line block ×5, first 2 shown]
	v_add_f64 v[195:196], v[165:166], v[169:170]
	v_add_f64 v[197:198], v[177:178], v[173:174]
	;; [unrolled: 1-line block ×5, first 2 shown]
	v_add_f64 v[223:224], v[159:160], -v[163:164]
	v_add_f64 v[153:154], v[157:158], -v[153:154]
	;; [unrolled: 1-line block ×3, first 2 shown]
	v_fma_f64 v[143:144], v[143:144], -0.5, v[183:184]
	v_fma_f64 v[183:184], v[189:190], -0.5, v[183:184]
	v_add_f64 v[189:190], v[155:156], -v[151:152]
	v_fma_f64 v[191:192], v[191:192], -0.5, v[181:182]
	v_fma_f64 v[181:182], v[193:194], -0.5, v[181:182]
	v_add_f64 v[155:156], v[159:160], -v[155:156]
	v_add_f64 v[193:194], v[163:164], -v[151:152]
	v_add_f64 v[157:158], v[203:204], v[157:158]
	v_add_f64 v[159:160], v[205:206], v[159:160]
	v_add_f64 v[203:204], v[179:180], -v[167:168]
	v_add_f64 v[179:180], v[167:168], -v[179:180]
	;; [unrolled: 1-line block ×3, first 2 shown]
	v_add_f64 v[167:168], v[209:210], v[167:168]
	v_add_f64 v[209:210], v[161:162], -v[149:150]
	v_add_f64 v[213:214], v[213:214], v[215:216]
	v_add_f64 v[219:220], v[219:220], v[221:222]
	v_fma_f64 v[195:196], v[195:196], -0.5, v[185:186]
	v_fma_f64 v[185:186], v[197:198], -0.5, v[185:186]
	;; [unrolled: 1-line block ×4, first 2 shown]
	v_add_f64 v[199:200], v[177:178], -v[173:174]
	v_add_f64 v[201:202], v[177:178], -v[165:166]
	;; [unrolled: 1-line block ×3, first 2 shown]
	v_add_f64 v[207:208], v[207:208], v[165:166]
	v_add_f64 v[165:166], v[165:166], -v[169:170]
	v_fma_f64 v[215:216], v[211:212], s[16:17], v[143:144]
	v_fma_f64 v[143:144], v[211:212], s[14:15], v[143:144]
	;; [unrolled: 1-line block ×4, first 2 shown]
	v_add_f64 v[155:156], v[155:156], v[193:194]
	v_fma_f64 v[193:194], v[189:190], s[16:17], v[191:192]
	v_fma_f64 v[191:192], v[189:190], s[14:15], v[191:192]
	v_add_f64 v[157:158], v[157:158], v[161:162]
	v_add_f64 v[159:160], v[159:160], v[163:164]
	;; [unrolled: 1-line block ×4, first 2 shown]
	v_add_f64 v[209:210], v[173:174], -v[169:170]
	v_fma_f64 v[215:216], v[217:218], s[8:9], v[215:216]
	v_fma_f64 v[143:144], v[217:218], s[12:13], v[143:144]
	v_add_f64 v[217:218], v[169:170], -v[173:174]
	v_fma_f64 v[221:222], v[211:212], s[8:9], v[221:222]
	v_fma_f64 v[183:184], v[211:212], s[12:13], v[183:184]
	;; [unrolled: 1-line block ×4, first 2 shown]
	v_add_f64 v[169:170], v[207:208], v[169:170]
	v_fma_f64 v[193:194], v[223:224], s[12:13], v[193:194]
	v_fma_f64 v[191:192], v[223:224], s[8:9], v[191:192]
	;; [unrolled: 1-line block ×4, first 2 shown]
	v_add_f64 v[157:158], v[157:158], v[149:150]
	v_add_f64 v[167:168], v[167:168], v[175:176]
	;; [unrolled: 1-line block ×4, first 2 shown]
	v_add_f64 v[209:210], v[175:176], -v[171:172]
	v_fma_f64 v[215:216], v[155:156], s[18:19], v[215:216]
	v_fma_f64 v[143:144], v[155:156], s[18:19], v[143:144]
	v_add_f64 v[177:178], v[177:178], v[217:218]
	v_add_f64 v[217:218], v[171:172], -v[175:176]
	v_fma_f64 v[155:156], v[199:200], s[14:15], v[197:198]
	v_fma_f64 v[211:212], v[189:190], s[12:13], v[211:212]
	;; [unrolled: 1-line block ×12, first 2 shown]
	v_add_f64 v[203:204], v[203:204], v[209:210]
	v_fma_f64 v[163:164], v[205:206], s[8:9], v[195:196]
	v_fma_f64 v[191:192], v[213:214], s[18:19], v[191:192]
	v_add_f64 v[169:170], v[169:170], v[173:174]
	v_add_f64 v[151:152], v[167:168], v[159:160]
	v_mul_f64 v[209:210], v[215:216], s[18:19]
	v_add_f64 v[179:180], v[179:180], v[217:218]
	v_fma_f64 v[155:156], v[165:166], s[8:9], v[155:156]
	v_fma_f64 v[195:196], v[153:154], s[18:19], v[211:212]
	v_fma_f64 v[153:154], v[153:154], s[18:19], v[181:182]
	v_fma_f64 v[171:172], v[225:226], s[12:13], v[189:190]
	v_fma_f64 v[185:186], v[225:226], s[8:9], v[185:186]
	v_fma_f64 v[165:166], v[165:166], s[12:13], v[197:198]
	v_mul_f64 v[181:182], v[221:222], s[12:13]
	v_mul_f64 v[197:198], v[215:216], s[16:17]
	v_fma_f64 v[189:190], v[199:200], s[8:9], v[219:220]
	v_fma_f64 v[187:188], v[199:200], s[12:13], v[187:188]
	v_mul_f64 v[207:208], v[193:194], s[8:9]
	v_mul_f64 v[199:200], v[143:144], s[16:17]
	;; [unrolled: 1-line block ×5, first 2 shown]
	v_fma_f64 v[173:174], v[201:202], s[18:19], v[161:162]
	v_fma_f64 v[175:176], v[201:202], s[18:19], v[163:164]
	v_add_f64 v[149:150], v[169:170], v[157:158]
	v_fma_f64 v[211:212], v[203:204], s[18:19], v[155:156]
	v_add_f64 v[155:156], v[167:168], -v[159:160]
	v_fma_f64 v[201:202], v[177:178], s[18:19], v[171:172]
	v_fma_f64 v[185:186], v[177:178], s[18:19], v[185:186]
	;; [unrolled: 1-line block ×13, first 2 shown]
	v_add_f64 v[153:154], v[169:170], -v[157:158]
	v_add_f64 v[157:158], v[173:174], v[177:178]
	v_add_f64 v[173:174], v[173:174], -v[177:178]
	v_add_f64 v[161:162], v[201:202], v[179:180]
	v_add_f64 v[159:160], v[211:212], v[197:198]
	;; [unrolled: 1-line block ×7, first 2 shown]
	v_add_f64 v[181:182], v[185:186], -v[181:182]
	v_add_f64 v[185:186], v[175:176], -v[193:194]
	;; [unrolled: 1-line block ×7, first 2 shown]
	ds_store_b128 v145, v[149:152]
	ds_store_b128 v145, v[153:156] offset:80
	ds_store_b128 v145, v[157:160] offset:16
	;; [unrolled: 1-line block ×9, first 2 shown]
	s_waitcnt lgkmcnt(0)
	s_barrier
	buffer_gl0_inv
	ds_load_b128 v[149:152], v142 offset:8000
	ds_load_b128 v[153:156], v142 offset:16000
	ds_load_b128 v[157:160], v142 offset:24000
	ds_load_b128 v[161:164], v142 offset:32000
	ds_load_b128 v[165:168], v142 offset:12000
	ds_load_b128 v[169:172], v142 offset:20000
	ds_load_b128 v[173:176], v142 offset:28000
	ds_load_b128 v[177:180], v142 offset:36000
	s_waitcnt lgkmcnt(7)
	v_mul_f64 v[143:144], v[54:55], v[151:152]
	s_waitcnt lgkmcnt(6)
	v_mul_f64 v[181:182], v[46:47], v[155:156]
	;; [unrolled: 2-line block ×3, first 2 shown]
	v_mul_f64 v[54:55], v[54:55], v[149:150]
	v_mul_f64 v[46:47], v[46:47], v[153:154]
	;; [unrolled: 1-line block ×3, first 2 shown]
	s_waitcnt lgkmcnt(4)
	v_mul_f64 v[185:186], v[50:51], v[163:164]
	v_mul_f64 v[50:51], v[50:51], v[161:162]
	s_waitcnt lgkmcnt(2)
	v_mul_f64 v[189:190], v[66:67], v[171:172]
	s_waitcnt lgkmcnt(1)
	v_mul_f64 v[191:192], v[62:63], v[175:176]
	v_mul_f64 v[66:67], v[66:67], v[169:170]
	;; [unrolled: 1-line block ×5, first 2 shown]
	s_waitcnt lgkmcnt(0)
	v_mul_f64 v[193:194], v[58:59], v[179:180]
	v_mul_f64 v[58:59], v[58:59], v[177:178]
	v_fma_f64 v[143:144], v[52:53], v[149:150], v[143:144]
	v_fma_f64 v[149:150], v[44:45], v[153:154], v[181:182]
	;; [unrolled: 1-line block ×3, first 2 shown]
	v_fma_f64 v[52:53], v[52:53], v[151:152], -v[54:55]
	v_fma_f64 v[151:152], v[44:45], v[155:156], -v[46:47]
	;; [unrolled: 1-line block ×3, first 2 shown]
	v_fma_f64 v[54:55], v[48:49], v[161:162], v[185:186]
	v_fma_f64 v[48:49], v[48:49], v[163:164], -v[50:51]
	v_fma_f64 v[157:158], v[64:65], v[169:170], v[189:190]
	v_fma_f64 v[159:160], v[60:61], v[173:174], v[191:192]
	v_fma_f64 v[64:65], v[64:65], v[171:172], -v[66:67]
	v_fma_f64 v[60:61], v[60:61], v[175:176], -v[62:63]
	v_fma_f64 v[50:51], v[68:69], v[165:166], v[187:188]
	v_fma_f64 v[68:69], v[68:69], v[167:168], -v[70:71]
	v_fma_f64 v[70:71], v[56:57], v[177:178], v[193:194]
	v_fma_f64 v[56:57], v[56:57], v[179:180], -v[58:59]
	ds_load_b128 v[40:43], v142
	ds_load_b128 v[44:47], v142 offset:4000
	s_waitcnt lgkmcnt(0)
	s_barrier
	buffer_gl0_inv
	v_add_f64 v[171:172], v[40:41], v[143:144]
	v_add_f64 v[58:59], v[149:150], v[153:154]
	v_add_f64 v[177:178], v[42:43], v[52:53]
	v_add_f64 v[193:194], v[52:53], -v[151:152]
	v_add_f64 v[66:67], v[151:152], v[155:156]
	v_add_f64 v[62:63], v[143:144], v[54:55]
	;; [unrolled: 1-line block ×3, first 2 shown]
	v_add_f64 v[173:174], v[52:53], -v[48:49]
	v_add_f64 v[163:164], v[157:158], v[159:160]
	v_add_f64 v[183:184], v[143:144], -v[54:55]
	v_add_f64 v[167:168], v[64:65], v[60:61]
	v_add_f64 v[179:180], v[44:45], v[50:51]
	;; [unrolled: 1-line block ×5, first 2 shown]
	v_add_f64 v[175:176], v[151:152], -v[155:156]
	v_add_f64 v[185:186], v[68:69], -v[56:57]
	;; [unrolled: 1-line block ×16, first 2 shown]
	v_fma_f64 v[58:59], v[58:59], -0.5, v[40:41]
	v_add_f64 v[151:152], v[177:178], v[151:152]
	v_fma_f64 v[66:67], v[66:67], -0.5, v[42:43]
	v_fma_f64 v[40:41], v[62:63], -0.5, v[40:41]
	v_add_f64 v[62:63], v[149:150], -v[153:154]
	v_fma_f64 v[42:43], v[161:162], -0.5, v[42:43]
	v_fma_f64 v[163:164], v[163:164], -0.5, v[44:45]
	v_add_f64 v[161:162], v[64:65], -v[60:61]
	v_fma_f64 v[167:168], v[167:168], -0.5, v[46:47]
	v_add_f64 v[64:65], v[181:182], v[64:65]
	v_fma_f64 v[44:45], v[165:166], -0.5, v[44:45]
	v_add_f64 v[165:166], v[157:158], -v[159:160]
	v_fma_f64 v[46:47], v[169:170], -0.5, v[46:47]
	v_add_f64 v[169:170], v[143:144], -v[149:150]
	v_add_f64 v[143:144], v[149:150], -v[143:144]
	v_add_f64 v[149:150], v[171:172], v[149:150]
	v_add_f64 v[157:158], v[179:180], v[157:158]
	v_fma_f64 v[171:172], v[173:174], s[16:17], v[58:59]
	v_fma_f64 v[58:59], v[173:174], s[14:15], v[58:59]
	;; [unrolled: 1-line block ×16, first 2 shown]
	v_add_f64 v[169:170], v[169:170], v[189:190]
	v_add_f64 v[143:144], v[143:144], v[191:192]
	;; [unrolled: 1-line block ×12, first 2 shown]
	v_fma_f64 v[64:65], v[175:176], s[12:13], v[171:172]
	v_fma_f64 v[58:59], v[175:176], s[8:9], v[58:59]
	;; [unrolled: 1-line block ×16, first 2 shown]
	v_add_f64 v[40:41], v[50:51], v[54:55]
	v_add_f64 v[42:43], v[52:53], v[48:49]
	;; [unrolled: 1-line block ×4, first 2 shown]
	v_fma_f64 v[48:49], v[169:170], s[18:19], v[64:65]
	v_fma_f64 v[52:53], v[169:170], s[18:19], v[58:59]
	;; [unrolled: 1-line block ×16, first 2 shown]
	ds_store_b128 v147, v[40:43]
	ds_store_b128 v147, v[48:51] offset:160
	ds_store_b128 v147, v[56:59] offset:320
	;; [unrolled: 1-line block ×4, first 2 shown]
	ds_store_b128 v146, v[44:47]
	ds_store_b128 v146, v[64:67] offset:160
	ds_store_b128 v146, v[149:152] offset:320
	;; [unrolled: 1-line block ×4, first 2 shown]
	s_waitcnt lgkmcnt(0)
	s_barrier
	buffer_gl0_inv
	ds_load_b128 v[40:43], v142 offset:12000
	ds_load_b128 v[44:47], v142 offset:20000
	;; [unrolled: 1-line block ×6, first 2 shown]
	s_waitcnt lgkmcnt(5)
	v_mul_f64 v[64:65], v[94:95], v[40:41]
	s_waitcnt lgkmcnt(4)
	v_mul_f64 v[66:67], v[102:103], v[44:45]
	;; [unrolled: 2-line block ×5, first 2 shown]
	v_mul_f64 v[94:95], v[94:95], v[42:43]
	v_mul_f64 v[102:103], v[102:103], v[46:47]
	;; [unrolled: 1-line block ×5, first 2 shown]
	v_fma_f64 v[151:152], v[92:93], v[42:43], -v[64:65]
	v_fma_f64 v[46:47], v[100:101], v[46:47], -v[66:67]
	;; [unrolled: 1-line block ×4, first 2 shown]
	ds_load_b128 v[64:67], v142 offset:16000
	ds_load_b128 v[68:71], v142 offset:24000
	;; [unrolled: 1-line block ×3, first 2 shown]
	s_waitcnt lgkmcnt(3)
	v_mul_f64 v[42:43], v[90:91], v[62:63]
	v_mul_f64 v[90:91], v[90:91], v[60:61]
	v_fma_f64 v[92:93], v[92:93], v[40:41], v[94:95]
	v_fma_f64 v[44:45], v[100:101], v[44:45], v[102:103]
	;; [unrolled: 1-line block ×4, first 2 shown]
	v_fma_f64 v[58:59], v[72:73], v[58:59], -v[149:150]
	v_fma_f64 v[56:57], v[72:73], v[56:57], v[74:75]
	s_waitcnt lgkmcnt(2)
	v_mul_f64 v[153:154], v[86:87], v[66:67]
	v_mul_f64 v[86:87], v[86:87], v[64:65]
	s_waitcnt lgkmcnt(1)
	v_mul_f64 v[155:156], v[82:83], v[70:71]
	s_waitcnt lgkmcnt(0)
	v_mul_f64 v[157:158], v[78:79], v[145:146]
	v_mul_f64 v[82:83], v[82:83], v[68:69]
	;; [unrolled: 1-line block ×3, first 2 shown]
	v_add_f64 v[100:101], v[151:152], -v[46:47]
	v_add_f64 v[40:41], v[46:47], v[50:51]
	v_add_f64 v[94:95], v[151:152], v[54:55]
	v_add_f64 v[98:99], v[151:152], -v[54:55]
	v_fma_f64 v[60:61], v[88:89], v[60:61], v[42:43]
	v_fma_f64 v[62:63], v[88:89], v[62:63], -v[90:91]
	v_add_f64 v[102:103], v[54:55], -v[50:51]
	v_add_f64 v[104:105], v[46:47], -v[151:152]
	v_add_f64 v[72:73], v[44:45], v[48:49]
	v_add_f64 v[74:75], v[92:93], v[52:53]
	v_add_f64 v[106:107], v[50:51], -v[54:55]
	v_add_f64 v[161:162], v[92:93], -v[44:45]
	;; [unrolled: 1-line block ×4, first 2 shown]
	v_fma_f64 v[64:65], v[84:85], v[64:65], v[153:154]
	v_fma_f64 v[66:67], v[84:85], v[66:67], -v[86:87]
	v_fma_f64 v[68:69], v[80:81], v[68:69], v[155:156]
	v_fma_f64 v[84:85], v[76:77], v[143:144], v[157:158]
	v_fma_f64 v[70:71], v[80:81], v[70:71], -v[82:83]
	v_fma_f64 v[76:77], v[76:77], v[145:146], -v[78:79]
	v_add_f64 v[78:79], v[92:93], -v[52:53]
	v_add_f64 v[80:81], v[44:45], -v[48:49]
	;; [unrolled: 1-line block ×3, first 2 shown]
	v_fma_f64 v[82:83], v[40:41], -0.5, v[58:59]
	v_fma_f64 v[86:87], v[94:95], -0.5, v[58:59]
	ds_load_b128 v[40:43], v142
	v_add_f64 v[58:59], v[58:59], v[151:152]
	s_waitcnt lgkmcnt(0)
	s_barrier
	buffer_gl0_inv
	v_fma_f64 v[72:73], v[72:73], -0.5, v[56:57]
	v_fma_f64 v[74:75], v[74:75], -0.5, v[56:57]
	v_add_f64 v[56:57], v[56:57], v[92:93]
	v_add_f64 v[92:93], v[44:45], -v[92:93]
	v_add_f64 v[167:168], v[62:63], -v[66:67]
	v_add_f64 v[88:89], v[64:65], v[68:69]
	v_add_f64 v[90:91], v[60:61], v[84:85]
	;; [unrolled: 1-line block ×6, first 2 shown]
	v_add_f64 v[155:156], v[62:63], -v[76:77]
	v_add_f64 v[151:152], v[60:61], -v[84:85]
	;; [unrolled: 1-line block ×6, first 2 shown]
	v_fma_f64 v[145:146], v[78:79], s[14:15], v[82:83]
	v_fma_f64 v[149:150], v[80:81], s[16:17], v[86:87]
	;; [unrolled: 1-line block ×4, first 2 shown]
	v_add_f64 v[46:47], v[58:59], v[46:47]
	v_add_f64 v[44:45], v[56:57], v[44:45]
	;; [unrolled: 1-line block ×4, first 2 shown]
	v_fma_f64 v[88:89], v[88:89], -0.5, v[40:41]
	v_fma_f64 v[40:41], v[90:91], -0.5, v[40:41]
	;; [unrolled: 1-line block ×4, first 2 shown]
	v_add_f64 v[96:97], v[100:101], v[102:103]
	v_add_f64 v[100:101], v[104:105], v[106:107]
	v_fma_f64 v[102:103], v[98:99], s[16:17], v[72:73]
	v_fma_f64 v[72:73], v[98:99], s[14:15], v[72:73]
	;; [unrolled: 1-line block ×4, first 2 shown]
	v_add_f64 v[90:91], v[64:65], -v[68:69]
	v_add_f64 v[66:67], v[159:160], v[66:67]
	v_add_f64 v[62:63], v[62:63], v[171:172]
	v_fma_f64 v[106:107], v[80:81], s[8:9], v[145:146]
	v_fma_f64 v[145:146], v[78:79], s[8:9], v[149:150]
	;; [unrolled: 1-line block ×4, first 2 shown]
	v_add_f64 v[82:83], v[60:61], -v[64:65]
	v_add_f64 v[60:61], v[64:65], -v[60:61]
	v_add_f64 v[64:65], v[153:154], v[64:65]
	v_add_f64 v[86:87], v[84:85], -v[68:69]
	v_add_f64 v[149:150], v[68:69], -v[84:85]
	v_add_f64 v[44:45], v[44:45], v[48:49]
	v_add_f64 v[46:47], v[46:47], v[50:51]
	v_fma_f64 v[58:59], v[155:156], s[16:17], v[88:89]
	v_fma_f64 v[88:89], v[155:156], s[14:15], v[88:89]
	;; [unrolled: 1-line block ×12, first 2 shown]
	v_add_f64 v[66:67], v[66:67], v[70:71]
	v_fma_f64 v[98:99], v[96:97], s[18:19], v[106:107]
	v_fma_f64 v[106:107], v[100:101], s[18:19], v[145:146]
	;; [unrolled: 1-line block ×4, first 2 shown]
	v_add_f64 v[64:65], v[64:65], v[68:69]
	v_add_f64 v[82:83], v[82:83], v[86:87]
	;; [unrolled: 1-line block ×6, first 2 shown]
	v_fma_f64 v[48:49], v[157:158], s[12:13], v[58:59]
	v_fma_f64 v[50:51], v[157:158], s[8:9], v[88:89]
	;; [unrolled: 1-line block ×12, first 2 shown]
	v_add_f64 v[66:67], v[66:67], v[76:77]
	v_mul_f64 v[92:93], v[98:99], s[12:13]
	v_mul_f64 v[98:99], v[98:99], s[20:21]
	;; [unrolled: 1-line block ×8, first 2 shown]
	v_add_f64 v[64:65], v[64:65], v[84:85]
	v_fma_f64 v[76:77], v[82:83], s[18:19], v[48:49]
	v_fma_f64 v[82:83], v[82:83], s[18:19], v[50:51]
	;; [unrolled: 1-line block ×8, first 2 shown]
	v_add_f64 v[42:43], v[66:67], v[46:47]
	v_add_f64 v[46:47], v[66:67], -v[46:47]
	v_fma_f64 v[68:69], v[90:91], s[20:21], v[92:93]
	v_fma_f64 v[90:91], v[90:91], s[8:9], v[98:99]
	;; [unrolled: 1-line block ×8, first 2 shown]
	v_add_f64 v[40:41], v[64:65], v[44:45]
	v_add_f64 v[44:45], v[64:65], -v[44:45]
	v_add_f64 v[48:49], v[76:77], v[68:69]
	v_add_f64 v[50:51], v[106:107], v[90:91]
	;; [unrolled: 1-line block ×8, first 2 shown]
	v_add_f64 v[64:65], v[76:77], -v[68:69]
	v_add_f64 v[66:67], v[106:107], -v[90:91]
	;; [unrolled: 1-line block ×8, first 2 shown]
	ds_store_b128 v148, v[40:43]
	ds_store_b128 v148, v[44:47] offset:4000
	ds_store_b128 v148, v[48:51] offset:800
	ds_store_b128 v148, v[52:55] offset:1600
	ds_store_b128 v148, v[56:59] offset:2400
	ds_store_b128 v148, v[60:63] offset:3200
	ds_store_b128 v148, v[64:67] offset:4800
	ds_store_b128 v148, v[68:71] offset:5600
	ds_store_b128 v148, v[72:75] offset:6400
	ds_store_b128 v148, v[76:79] offset:7200
	s_waitcnt lgkmcnt(0)
	s_barrier
	buffer_gl0_inv
	ds_load_b128 v[40:43], v142 offset:8000
	ds_load_b128 v[44:47], v142 offset:16000
	;; [unrolled: 1-line block ×8, first 2 shown]
	s_waitcnt lgkmcnt(7)
	v_mul_f64 v[72:73], v[118:119], v[42:43]
	s_waitcnt lgkmcnt(6)
	v_mul_f64 v[76:77], v[122:123], v[46:47]
	v_mul_f64 v[78:79], v[122:123], v[44:45]
	s_waitcnt lgkmcnt(5)
	v_mul_f64 v[80:81], v[114:115], v[50:51]
	v_mul_f64 v[82:83], v[114:115], v[48:49]
	;; [unrolled: 1-line block ×3, first 2 shown]
	s_waitcnt lgkmcnt(4)
	v_mul_f64 v[84:85], v[110:111], v[54:55]
	v_mul_f64 v[86:87], v[110:111], v[52:53]
	s_waitcnt lgkmcnt(2)
	v_mul_f64 v[92:93], v[138:139], v[62:63]
	v_mul_f64 v[94:95], v[138:139], v[60:61]
	;; [unrolled: 3-line block ×3, first 2 shown]
	v_mul_f64 v[88:89], v[126:127], v[58:59]
	v_mul_f64 v[90:91], v[126:127], v[56:57]
	s_waitcnt lgkmcnt(0)
	v_mul_f64 v[100:101], v[130:131], v[70:71]
	v_mul_f64 v[102:103], v[130:131], v[68:69]
	v_fma_f64 v[72:73], v[116:117], v[40:41], v[72:73]
	v_fma_f64 v[76:77], v[120:121], v[44:45], v[76:77]
	v_fma_f64 v[78:79], v[120:121], v[46:47], -v[78:79]
	v_fma_f64 v[48:49], v[112:113], v[48:49], v[80:81]
	v_fma_f64 v[50:51], v[112:113], v[50:51], -v[82:83]
	v_fma_f64 v[74:75], v[116:117], v[42:43], -v[74:75]
	v_fma_f64 v[52:53], v[108:109], v[52:53], v[84:85]
	v_fma_f64 v[54:55], v[108:109], v[54:55], -v[86:87]
	v_fma_f64 v[60:61], v[136:137], v[60:61], v[92:93]
	;; [unrolled: 2-line block ×5, first 2 shown]
	v_fma_f64 v[70:71], v[128:129], v[70:71], -v[102:103]
	ds_load_b128 v[40:43], v142
	ds_load_b128 v[44:47], v142 offset:4000
	s_waitcnt lgkmcnt(1)
	v_add_f64 v[96:97], v[40:41], v[72:73]
	v_add_f64 v[80:81], v[76:77], v[48:49]
	;; [unrolled: 1-line block ×6, first 2 shown]
	v_add_f64 v[98:99], v[74:75], -v[54:55]
	v_add_f64 v[104:105], v[72:73], -v[52:53]
	v_add_f64 v[88:89], v[60:61], v[64:65]
	v_add_f64 v[90:91], v[62:63], v[66:67]
	s_waitcnt lgkmcnt(0)
	v_add_f64 v[108:109], v[44:45], v[56:57]
	v_add_f64 v[110:111], v[46:47], v[58:59]
	;; [unrolled: 1-line block ×4, first 2 shown]
	v_add_f64 v[100:101], v[78:79], -v[50:51]
	v_add_f64 v[106:107], v[76:77], -v[48:49]
	;; [unrolled: 1-line block ×17, first 2 shown]
	v_fma_f64 v[80:81], v[80:81], -0.5, v[40:41]
	v_fma_f64 v[84:85], v[84:85], -0.5, v[42:43]
	v_add_f64 v[78:79], v[102:103], v[78:79]
	v_fma_f64 v[40:41], v[82:83], -0.5, v[40:41]
	v_fma_f64 v[42:43], v[86:87], -0.5, v[42:43]
	v_add_f64 v[82:83], v[62:63], -v[66:67]
	v_add_f64 v[86:87], v[60:61], -v[64:65]
	v_fma_f64 v[88:89], v[88:89], -0.5, v[44:45]
	v_fma_f64 v[90:91], v[90:91], -0.5, v[46:47]
	v_add_f64 v[60:61], v[108:109], v[60:61]
	v_add_f64 v[62:63], v[110:111], v[62:63]
	v_fma_f64 v[44:45], v[92:93], -0.5, v[44:45]
	v_fma_f64 v[46:47], v[94:95], -0.5, v[46:47]
	v_add_f64 v[92:93], v[72:73], -v[76:77]
	v_add_f64 v[94:95], v[52:53], -v[48:49]
	v_add_f64 v[72:73], v[76:77], -v[72:73]
	v_add_f64 v[76:77], v[96:97], v[76:77]
	v_add_f64 v[74:75], v[74:75], v[122:123]
	;; [unrolled: 1-line block ×3, first 2 shown]
	v_fma_f64 v[96:97], v[98:99], s[16:17], v[80:81]
	v_fma_f64 v[108:109], v[104:105], s[14:15], v[84:85]
	;; [unrolled: 1-line block ×16, first 2 shown]
	v_add_f64 v[92:93], v[92:93], v[94:95]
	v_add_f64 v[94:95], v[118:119], v[120:121]
	;; [unrolled: 1-line block ×10, first 2 shown]
	v_fma_f64 v[60:61], v[100:101], s[12:13], v[96:97]
	v_fma_f64 v[76:77], v[106:107], s[8:9], v[108:109]
	;; [unrolled: 1-line block ×16, first 2 shown]
	v_add_f64 v[44:45], v[56:57], v[68:69]
	v_add_f64 v[46:47], v[58:59], v[70:71]
	;; [unrolled: 1-line block ×4, first 2 shown]
	v_fma_f64 v[48:49], v[92:93], s[18:19], v[60:61]
	v_fma_f64 v[50:51], v[94:95], s[18:19], v[76:77]
	;; [unrolled: 1-line block ×16, first 2 shown]
	v_mad_u64_u32 v[80:81], null, s6, v140, 0
	ds_store_b128 v142, v[44:47] offset:4000
	ds_store_b128 v142, v[40:43]
	ds_store_b128 v142, v[48:51] offset:8000
	ds_store_b128 v142, v[56:59] offset:16000
	;; [unrolled: 1-line block ×8, first 2 shown]
	s_waitcnt lgkmcnt(0)
	s_barrier
	buffer_gl0_inv
	ds_load_b128 v[40:43], v142
	ds_load_b128 v[44:47], v142 offset:4000
	v_mad_u64_u32 v[82:83], null, s4, v141, 0
	ds_load_b128 v[48:51], v142 offset:8000
	ds_load_b128 v[52:55], v142 offset:12000
	;; [unrolled: 1-line block ×4, first 2 shown]
	v_mov_b32_e32 v72, v81
	ds_load_b128 v[64:67], v142 offset:24000
	ds_load_b128 v[68:71], v142 offset:28000
	s_mulk_i32 s4, 0xfa0
	v_mov_b32_e32 v81, v83
	v_mad_u64_u32 v[83:84], null, s7, v140, v[72:73]
	ds_load_b128 v[72:75], v142 offset:32000
	ds_load_b128 v[76:79], v142 offset:36000
	v_mad_u64_u32 v[84:85], null, s5, v141, v[81:82]
	s_waitcnt lgkmcnt(9)
	v_mul_f64 v[85:86], v[2:3], v[42:43]
	v_mul_f64 v[2:3], v[2:3], v[40:41]
	s_waitcnt lgkmcnt(8)
	v_mul_f64 v[87:88], v[6:7], v[46:47]
	v_mul_f64 v[6:7], v[6:7], v[44:45]
	;; [unrolled: 3-line block ×10, first 2 shown]
	v_mov_b32_e32 v81, v83
	v_mov_b32_e32 v83, v84
	s_delay_alu instid0(VALU_DEP_2) | instskip(NEXT) | instid1(VALU_DEP_2)
	v_lshlrev_b64 v[80:81], 4, v[80:81]
	v_lshlrev_b64 v[82:83], 4, v[82:83]
	s_delay_alu instid0(VALU_DEP_2) | instskip(NEXT) | instid1(VALU_DEP_3)
	v_add_co_u32 v80, vcc_lo, s0, v80
	v_add_co_ci_u32_e32 v81, vcc_lo, s1, v81, vcc_lo
	s_mov_b32 s0, 0xeb1c432d
	s_delay_alu instid0(VALU_DEP_2)
	v_add_co_u32 v80, vcc_lo, v80, v82
	v_fma_f64 v[40:41], v[0:1], v[40:41], v[85:86]
	v_fma_f64 v[2:3], v[0:1], v[42:43], -v[2:3]
	v_fma_f64 v[42:43], v[4:5], v[44:45], v[87:88]
	v_fma_f64 v[6:7], v[4:5], v[46:47], -v[6:7]
	;; [unrolled: 2-line block ×10, first 2 shown]
	v_add_co_ci_u32_e32 v81, vcc_lo, v81, v83, vcc_lo
	v_add_co_u32 v58, vcc_lo, v80, s4
	s_mov_b32 s1, 0x3f3a36e2
	s_delay_alu instid0(VALU_DEP_2) | instskip(NEXT) | instid1(VALU_DEP_2)
	v_add_co_ci_u32_e32 v59, vcc_lo, s3, v81, vcc_lo
	v_add_co_u32 v60, vcc_lo, v58, s4
	s_delay_alu instid0(VALU_DEP_2) | instskip(NEXT) | instid1(VALU_DEP_2)
	v_add_co_ci_u32_e32 v61, vcc_lo, s3, v59, vcc_lo
	v_add_co_u32 v62, vcc_lo, v60, s4
	s_delay_alu instid0(VALU_DEP_2)
	v_add_co_ci_u32_e32 v63, vcc_lo, s3, v61, vcc_lo
	v_mul_f64 v[0:1], v[40:41], s[0:1]
	v_mul_f64 v[2:3], v[2:3], s[0:1]
	;; [unrolled: 1-line block ×20, first 2 shown]
	v_add_co_u32 v40, vcc_lo, v62, s4
	v_add_co_ci_u32_e32 v41, vcc_lo, s3, v63, vcc_lo
	s_delay_alu instid0(VALU_DEP_2) | instskip(NEXT) | instid1(VALU_DEP_2)
	v_add_co_u32 v42, vcc_lo, v40, s4
	v_add_co_ci_u32_e32 v43, vcc_lo, s3, v41, vcc_lo
	s_delay_alu instid0(VALU_DEP_2) | instskip(NEXT) | instid1(VALU_DEP_2)
	;; [unrolled: 3-line block ×5, first 2 shown]
	v_add_co_u32 v50, vcc_lo, v48, s4
	v_add_co_ci_u32_e32 v51, vcc_lo, s3, v49, vcc_lo
	s_clause 0x4
	global_store_b128 v[80:81], v[0:3], off
	global_store_b128 v[58:59], v[4:7], off
	;; [unrolled: 1-line block ×10, first 2 shown]
.LBB0_2:
	s_nop 0
	s_sendmsg sendmsg(MSG_DEALLOC_VGPRS)
	s_endpgm
	.section	.rodata,"a",@progbits
	.p2align	6, 0x0
	.amdhsa_kernel bluestein_single_fwd_len2500_dim1_dp_op_CI_CI
		.amdhsa_group_segment_fixed_size 40000
		.amdhsa_private_segment_fixed_size 0
		.amdhsa_kernarg_size 104
		.amdhsa_user_sgpr_count 15
		.amdhsa_user_sgpr_dispatch_ptr 0
		.amdhsa_user_sgpr_queue_ptr 0
		.amdhsa_user_sgpr_kernarg_segment_ptr 1
		.amdhsa_user_sgpr_dispatch_id 0
		.amdhsa_user_sgpr_private_segment_size 0
		.amdhsa_wavefront_size32 1
		.amdhsa_uses_dynamic_stack 0
		.amdhsa_enable_private_segment 0
		.amdhsa_system_sgpr_workgroup_id_x 1
		.amdhsa_system_sgpr_workgroup_id_y 0
		.amdhsa_system_sgpr_workgroup_id_z 0
		.amdhsa_system_sgpr_workgroup_info 0
		.amdhsa_system_vgpr_workitem_id 0
		.amdhsa_next_free_vgpr 229
		.amdhsa_next_free_sgpr 26
		.amdhsa_reserve_vcc 1
		.amdhsa_float_round_mode_32 0
		.amdhsa_float_round_mode_16_64 0
		.amdhsa_float_denorm_mode_32 3
		.amdhsa_float_denorm_mode_16_64 3
		.amdhsa_dx10_clamp 1
		.amdhsa_ieee_mode 1
		.amdhsa_fp16_overflow 0
		.amdhsa_workgroup_processor_mode 1
		.amdhsa_memory_ordered 1
		.amdhsa_forward_progress 0
		.amdhsa_shared_vgpr_count 0
		.amdhsa_exception_fp_ieee_invalid_op 0
		.amdhsa_exception_fp_denorm_src 0
		.amdhsa_exception_fp_ieee_div_zero 0
		.amdhsa_exception_fp_ieee_overflow 0
		.amdhsa_exception_fp_ieee_underflow 0
		.amdhsa_exception_fp_ieee_inexact 0
		.amdhsa_exception_int_div_zero 0
	.end_amdhsa_kernel
	.text
.Lfunc_end0:
	.size	bluestein_single_fwd_len2500_dim1_dp_op_CI_CI, .Lfunc_end0-bluestein_single_fwd_len2500_dim1_dp_op_CI_CI
                                        ; -- End function
	.section	.AMDGPU.csdata,"",@progbits
; Kernel info:
; codeLenInByte = 15324
; NumSgprs: 28
; NumVgprs: 229
; ScratchSize: 0
; MemoryBound: 0
; FloatMode: 240
; IeeeMode: 1
; LDSByteSize: 40000 bytes/workgroup (compile time only)
; SGPRBlocks: 3
; VGPRBlocks: 28
; NumSGPRsForWavesPerEU: 28
; NumVGPRsForWavesPerEU: 229
; Occupancy: 6
; WaveLimiterHint : 1
; COMPUTE_PGM_RSRC2:SCRATCH_EN: 0
; COMPUTE_PGM_RSRC2:USER_SGPR: 15
; COMPUTE_PGM_RSRC2:TRAP_HANDLER: 0
; COMPUTE_PGM_RSRC2:TGID_X_EN: 1
; COMPUTE_PGM_RSRC2:TGID_Y_EN: 0
; COMPUTE_PGM_RSRC2:TGID_Z_EN: 0
; COMPUTE_PGM_RSRC2:TIDIG_COMP_CNT: 0
	.text
	.p2alignl 7, 3214868480
	.fill 96, 4, 3214868480
	.type	__hip_cuid_319605f1348ca881,@object ; @__hip_cuid_319605f1348ca881
	.section	.bss,"aw",@nobits
	.globl	__hip_cuid_319605f1348ca881
__hip_cuid_319605f1348ca881:
	.byte	0                               ; 0x0
	.size	__hip_cuid_319605f1348ca881, 1

	.ident	"AMD clang version 19.0.0git (https://github.com/RadeonOpenCompute/llvm-project roc-6.4.0 25133 c7fe45cf4b819c5991fe208aaa96edf142730f1d)"
	.section	".note.GNU-stack","",@progbits
	.addrsig
	.addrsig_sym __hip_cuid_319605f1348ca881
	.amdgpu_metadata
---
amdhsa.kernels:
  - .args:
      - .actual_access:  read_only
        .address_space:  global
        .offset:         0
        .size:           8
        .value_kind:     global_buffer
      - .actual_access:  read_only
        .address_space:  global
        .offset:         8
        .size:           8
        .value_kind:     global_buffer
      - .actual_access:  read_only
        .address_space:  global
        .offset:         16
        .size:           8
        .value_kind:     global_buffer
      - .actual_access:  read_only
        .address_space:  global
        .offset:         24
        .size:           8
        .value_kind:     global_buffer
      - .actual_access:  read_only
        .address_space:  global
        .offset:         32
        .size:           8
        .value_kind:     global_buffer
      - .offset:         40
        .size:           8
        .value_kind:     by_value
      - .address_space:  global
        .offset:         48
        .size:           8
        .value_kind:     global_buffer
      - .address_space:  global
        .offset:         56
        .size:           8
        .value_kind:     global_buffer
      - .address_space:  global
        .offset:         64
        .size:           8
        .value_kind:     global_buffer
      - .address_space:  global
        .offset:         72
        .size:           8
        .value_kind:     global_buffer
      - .offset:         80
        .size:           4
        .value_kind:     by_value
      - .address_space:  global
        .offset:         88
        .size:           8
        .value_kind:     global_buffer
      - .address_space:  global
        .offset:         96
        .size:           8
        .value_kind:     global_buffer
    .group_segment_fixed_size: 40000
    .kernarg_segment_align: 8
    .kernarg_segment_size: 104
    .language:       OpenCL C
    .language_version:
      - 2
      - 0
    .max_flat_workgroup_size: 250
    .name:           bluestein_single_fwd_len2500_dim1_dp_op_CI_CI
    .private_segment_fixed_size: 0
    .sgpr_count:     28
    .sgpr_spill_count: 0
    .symbol:         bluestein_single_fwd_len2500_dim1_dp_op_CI_CI.kd
    .uniform_work_group_size: 1
    .uses_dynamic_stack: false
    .vgpr_count:     229
    .vgpr_spill_count: 0
    .wavefront_size: 32
    .workgroup_processor_mode: 1
amdhsa.target:   amdgcn-amd-amdhsa--gfx1100
amdhsa.version:
  - 1
  - 2
...

	.end_amdgpu_metadata
